;; amdgpu-corpus repo=ROCm/rocFFT kind=compiled arch=gfx1030 opt=O3
	.text
	.amdgcn_target "amdgcn-amd-amdhsa--gfx1030"
	.amdhsa_code_object_version 6
	.protected	bluestein_single_back_len308_dim1_sp_op_CI_CI ; -- Begin function bluestein_single_back_len308_dim1_sp_op_CI_CI
	.globl	bluestein_single_back_len308_dim1_sp_op_CI_CI
	.p2align	8
	.type	bluestein_single_back_len308_dim1_sp_op_CI_CI,@function
bluestein_single_back_len308_dim1_sp_op_CI_CI: ; @bluestein_single_back_len308_dim1_sp_op_CI_CI
; %bb.0:
	s_load_dwordx4 s[0:3], s[4:5], 0x28
	v_mul_u32_u24_e32 v1, 0x5d2, v0
	v_mov_b32_e32 v43, 0
	v_lshrrev_b32_e32 v1, 16, v1
	v_add_nc_u32_e32 v42, s6, v1
	s_waitcnt lgkmcnt(0)
	v_cmp_gt_u64_e32 vcc_lo, s[0:1], v[42:43]
	s_and_saveexec_b32 s0, vcc_lo
	s_cbranch_execz .LBB0_23
; %bb.1:
	v_mul_lo_u16 v1, v1, 44
	s_clause 0x1
	s_load_dwordx2 s[14:15], s[4:5], 0x0
	s_load_dwordx2 s[12:13], s[4:5], 0x38
	v_sub_nc_u16 v0, v0, v1
	v_and_b32_e32 v51, 0xffff, v0
	v_cmp_gt_u16_e32 vcc_lo, 28, v0
	v_lshlrev_b32_e32 v50, 3, v51
	v_or_b32_e32 v49, 0xe0, v51
	s_and_saveexec_b32 s1, vcc_lo
	s_cbranch_execz .LBB0_3
; %bb.2:
	s_load_dwordx2 s[6:7], s[4:5], 0x18
	s_waitcnt lgkmcnt(0)
	global_load_dwordx2 v[12:13], v50, s[14:15] offset:1792
	s_load_dwordx4 s[8:11], s[6:7], 0x0
	s_waitcnt lgkmcnt(0)
	v_mad_u64_u32 v[0:1], null, s10, v42, 0
	v_mad_u64_u32 v[2:3], null, s8, v51, 0
	s_mul_i32 s6, s9, 0xe0
	s_mul_hi_u32 s7, s8, 0xe0
	s_mul_i32 s10, s8, 0xe0
	s_add_i32 s7, s7, s6
	v_mad_u64_u32 v[4:5], null, s11, v42, v[1:2]
	v_mad_u64_u32 v[5:6], null, s9, v51, v[3:4]
	v_mov_b32_e32 v1, v4
	global_load_dwordx2 v[6:7], v50, s[14:15]
	v_lshlrev_b64 v[0:1], 3, v[0:1]
	v_mov_b32_e32 v3, v5
	v_mad_u64_u32 v[4:5], null, s8, v49, 0
	v_lshlrev_b64 v[2:3], 3, v[2:3]
	v_add_co_u32 v18, s0, s2, v0
	v_add_co_ci_u32_e64 v19, s0, s3, v1, s0
	v_add_co_u32 v0, s0, v18, v2
	v_add_co_ci_u32_e64 v1, s0, v19, v3, s0
	v_mov_b32_e32 v2, v5
	v_add_co_u32 v8, s0, v0, s10
	v_add_co_ci_u32_e64 v9, s0, s7, v1, s0
	v_mad_u64_u32 v[2:3], null, s9, v49, v[2:3]
	v_add_co_u32 v10, s0, v8, s10
	v_add_co_ci_u32_e64 v11, s0, s7, v9, s0
	v_add_co_u32 v14, s0, v10, s10
	v_add_co_ci_u32_e64 v15, s0, s7, v11, s0
	v_mov_b32_e32 v5, v2
	v_add_co_u32 v2, s0, v14, s10
	v_add_co_ci_u32_e64 v3, s0, s7, v15, s0
	v_lshlrev_b64 v[4:5], 3, v[4:5]
	v_add_co_u32 v16, s0, v2, s10
	v_add_co_ci_u32_e64 v17, s0, s7, v3, s0
	v_add_co_u32 v4, s0, v18, v4
	v_add_co_ci_u32_e64 v5, s0, v19, v5, s0
	;; [unrolled: 2-line block ×3, first 2 shown]
	s_clause 0x2
	global_load_dwordx2 v[4:5], v[4:5], off
	global_load_dwordx2 v[0:1], v[0:1], off
	;; [unrolled: 1-line block ×3, first 2 shown]
	s_clause 0x1
	global_load_dwordx2 v[22:23], v50, s[14:15] offset:224
	global_load_dwordx2 v[26:27], v50, s[14:15] offset:448
	global_load_dwordx2 v[10:11], v[10:11], off
	v_add_co_u32 v20, s0, v18, s10
	v_add_co_ci_u32_e64 v21, s0, s7, v19, s0
	v_add_co_u32 v39, s0, s14, v50
	global_load_dwordx2 v[28:29], v50, s[14:15] offset:672
	s_clause 0x1
	global_load_dwordx2 v[14:15], v[14:15], off
	global_load_dwordx2 v[2:3], v[2:3], off
	v_mad_u64_u32 v[24:25], null, 0x1c0, s8, v[20:21]
	v_add_co_ci_u32_e64 v40, null, s15, 0, s0
	v_add_co_u32 v39, s0, 0x800, v39
	v_add_co_ci_u32_e64 v40, s0, 0, v40, s0
	v_add_co_u32 v43, s0, v24, s10
	s_waitcnt vmcnt(7)
	v_mul_f32_e32 v47, v1, v7
	s_waitcnt vmcnt(4)
	v_mad_u64_u32 v[30:31], null, 0x1c0, s9, v[25:26]
	s_clause 0x3
	global_load_dwordx2 v[31:32], v50, s[14:15] offset:896
	global_load_dwordx2 v[33:34], v50, s[14:15] offset:1120
	;; [unrolled: 1-line block ×4, first 2 shown]
	global_load_dwordx2 v[16:17], v[16:17], off
	global_load_dwordx2 v[18:19], v[18:19], off
	;; [unrolled: 1-line block ×3, first 2 shown]
	v_mul_f32_e32 v52, v9, v23
	v_mul_f32_e32 v23, v8, v23
	v_fmac_f32_e32 v47, v0, v6
	v_mov_b32_e32 v25, v30
	v_mul_f32_e32 v30, v0, v7
	s_waitcnt vmcnt(10)
	v_mul_f32_e32 v0, v11, v27
	v_mul_f32_e32 v7, v5, v13
	;; [unrolled: 1-line block ×3, first 2 shown]
	v_add_co_ci_u32_e64 v44, s0, s7, v25, s0
	global_load_dwordx2 v[45:46], v50, s[14:15] offset:2016
	global_load_dwordx2 v[24:25], v[24:25], off
	global_load_dwordx2 v[39:40], v[39:40], off offset:192
	global_load_dwordx2 v[43:44], v[43:44], off
	v_fma_f32 v48, v1, v6, -v30
	v_fma_f32 v53, v9, v22, -v23
	v_mul_f32_e32 v1, v10, v27
	v_fmac_f32_e32 v0, v10, v26
	v_fmac_f32_e32 v52, v8, v22
	v_fma_f32 v8, v5, v12, -v13
	s_waitcnt vmcnt(12)
	v_mul_f32_e32 v5, v14, v29
	v_fma_f32 v1, v11, v26, -v1
	v_fmac_f32_e32 v7, v4, v12
	v_mul_f32_e32 v4, v15, v29
	ds_write2_b64 v50, v[47:48], v[52:53] offset1:28
	v_fma_f32 v5, v15, v28, -v5
	v_fmac_f32_e32 v4, v14, v28
	s_waitcnt vmcnt(10)
	v_mul_f32_e32 v6, v2, v32
	v_mul_f32_e32 v9, v3, v32
	v_fma_f32 v10, v3, v31, -v6
	s_waitcnt vmcnt(5)
	v_mul_f32_e32 v6, v18, v36
	v_fmac_f32_e32 v9, v2, v31
	v_mul_f32_e32 v2, v17, v34
	v_mul_f32_e32 v3, v16, v34
	;; [unrolled: 1-line block ×3, first 2 shown]
	s_waitcnt vmcnt(4)
	v_mul_f32_e32 v13, v21, v38
	v_fma_f32 v12, v19, v35, -v6
	v_mul_f32_e32 v6, v20, v38
	v_fmac_f32_e32 v2, v16, v33
	s_waitcnt vmcnt(2)
	v_mul_f32_e32 v15, v25, v46
	v_mul_f32_e32 v16, v24, v46
	v_fma_f32 v3, v17, v33, -v3
	v_fmac_f32_e32 v11, v18, v35
	s_waitcnt vmcnt(0)
	v_mul_f32_e32 v17, v44, v40
	v_mul_f32_e32 v18, v43, v40
	v_fmac_f32_e32 v13, v20, v37
	v_fma_f32 v14, v21, v37, -v6
	v_fmac_f32_e32 v15, v24, v45
	v_fma_f32 v16, v25, v45, -v16
	;; [unrolled: 2-line block ×3, first 2 shown]
	ds_write2_b64 v50, v[0:1], v[4:5] offset0:56 offset1:84
	ds_write2_b64 v50, v[9:10], v[2:3] offset0:112 offset1:140
	;; [unrolled: 1-line block ×4, first 2 shown]
	ds_write_b64 v50, v[17:18] offset:2240
.LBB0_3:
	s_or_b32 exec_lo, exec_lo, s1
	s_clause 0x1
	s_load_dwordx2 s[0:1], s[4:5], 0x20
	s_load_dwordx2 s[2:3], s[4:5], 0x8
	v_mov_b32_e32 v4, 0
	v_mov_b32_e32 v5, 0
	s_waitcnt lgkmcnt(0)
	s_barrier
	buffer_gl0_inv
                                        ; implicit-def: $vgpr14
                                        ; implicit-def: $vgpr8
                                        ; implicit-def: $vgpr24
                                        ; implicit-def: $vgpr18
                                        ; implicit-def: $vgpr22
	s_and_saveexec_b32 s4, vcc_lo
	s_cbranch_execz .LBB0_5
; %bb.4:
	ds_read2_b64 v[4:7], v50 offset1:28
	ds_read2_b64 v[20:23], v50 offset0:56 offset1:84
	ds_read2_b64 v[16:19], v50 offset0:112 offset1:140
	;; [unrolled: 1-line block ×4, first 2 shown]
	ds_read_b64 v[24:25], v50 offset:2240
.LBB0_5:
	s_or_b32 exec_lo, exec_lo, s4
	s_waitcnt lgkmcnt(0)
	v_sub_f32_e32 v58, v7, v25
	v_add_f32_e32 v39, v24, v6
	v_sub_f32_e32 v68, v21, v11
	v_sub_f32_e32 v47, v6, v24
	v_add_f32_e32 v45, v10, v20
	v_mul_f32_e32 v28, 0xbf0a6770, v58
	v_sub_f32_e32 v71, v23, v9
	v_mul_f32_e32 v30, 0xbf68dda4, v68
	v_add_f32_e32 v64, v25, v7
	v_mul_f32_e32 v29, 0xbf0a6770, v47
	v_fmamk_f32 v0, v39, 0x3f575c64, v28
	v_sub_f32_e32 v61, v20, v10
	v_fmamk_f32 v2, v45, 0x3ed4b147, v30
	v_add_f32_e32 v54, v8, v22
	v_mul_f32_e32 v32, 0xbf7d64f0, v71
	v_add_f32_e32 v0, v0, v4
	v_sub_f32_e32 v79, v17, v15
	v_fma_f32 v1, 0x3f575c64, v64, -v29
	v_add_f32_e32 v53, v11, v21
	v_mul_f32_e32 v31, 0xbf68dda4, v61
	v_sub_f32_e32 v70, v22, v8
	v_add_f32_e32 v0, v2, v0
	v_fmamk_f32 v2, v54, 0xbe11bafb, v32
	v_add_f32_e32 v62, v14, v16
	v_mul_f32_e32 v34, 0xbf4178ce, v79
	v_sub_f32_e32 v69, v19, v13
	v_add_f32_e32 v1, v1, v5
	v_mul_f32_e32 v36, 0xbf68dda4, v58
	v_fma_f32 v3, 0x3ed4b147, v53, -v31
	v_add_f32_e32 v55, v9, v23
	v_mul_f32_e32 v33, 0xbf7d64f0, v70
	v_sub_f32_e32 v78, v16, v14
	v_add_f32_e32 v0, v2, v0
	v_fmamk_f32 v2, v62, 0xbf27a4f4, v34
	v_add_f32_e32 v66, v12, v18
	v_mul_f32_e32 v37, 0xbe903f40, v69
	v_mul_f32_e32 v57, 0xbf68dda4, v47
	v_add_f32_e32 v1, v3, v1
	v_fma_f32 v3, 0xbe11bafb, v55, -v33
	v_add_f32_e32 v63, v15, v17
	v_mul_f32_e32 v35, 0xbf4178ce, v78
	v_sub_f32_e32 v74, v18, v12
	v_fmamk_f32 v26, v39, 0x3ed4b147, v36
	v_add_f32_e32 v0, v2, v0
	v_fmamk_f32 v2, v66, 0xbf75a155, v37
	v_mul_f32_e32 v46, 0xbf4178ce, v68
	v_fma_f32 v27, 0x3ed4b147, v64, -v57
	v_mul_f32_e32 v59, 0xbf4178ce, v61
	v_add_f32_e32 v1, v3, v1
	v_fma_f32 v3, 0xbf27a4f4, v63, -v35
	v_add_f32_e32 v67, v13, v19
	v_mul_f32_e32 v38, 0xbe903f40, v74
	v_add_f32_e32 v26, v26, v4
	v_add_f32_e32 v43, v2, v0
	v_fmamk_f32 v0, v45, 0xbf27a4f4, v46
	v_mul_f32_e32 v48, 0x3e903f40, v71
	v_add_f32_e32 v2, v27, v5
	v_fma_f32 v27, 0xbf27a4f4, v53, -v59
	v_mul_f32_e32 v56, 0x3e903f40, v70
	v_add_f32_e32 v1, v3, v1
	v_fma_f32 v3, 0xbf75a155, v67, -v38
	v_add_f32_e32 v0, v0, v26
	v_fmamk_f32 v26, v54, 0xbf75a155, v48
	v_mul_f32_e32 v40, 0x3f7d64f0, v79
	v_add_f32_e32 v2, v27, v2
	v_fma_f32 v27, 0xbf75a155, v55, -v56
	v_mul_f32_e32 v60, 0x3f7d64f0, v78
	v_add_f32_e32 v0, v26, v0
	v_fmamk_f32 v26, v62, 0xbe11bafb, v40
	v_add_f32_e32 v44, v3, v1
	v_add_f32_e32 v1, v27, v2
	v_fma_f32 v2, 0xbe11bafb, v63, -v60
	v_mul_f32_e32 v76, 0xbf7d64f0, v58
	v_mul_f32_e32 v41, 0x3f0a6770, v69
	v_add_f32_e32 v0, v26, v0
	v_mul_f32_e32 v72, 0x3e903f40, v68
	v_add_f32_e32 v1, v2, v1
	v_fmamk_f32 v2, v39, 0xbe11bafb, v76
	v_fmamk_f32 v3, v66, 0x3f575c64, v41
	v_mul_f32_e32 v82, 0xbf7d64f0, v47
	v_fmamk_f32 v52, v45, 0xbf75a155, v72
	v_mul_f32_e32 v77, 0x3f68dda4, v71
	v_add_f32_e32 v27, v2, v4
	v_add_f32_e32 v2, v3, v0
	v_fma_f32 v0, 0xbe11bafb, v64, -v82
	v_mul_f32_e32 v83, 0x3e903f40, v61
	v_mul_f32_e32 v73, 0xbf0a6770, v79
	v_add_f32_e32 v3, v52, v27
	v_fmamk_f32 v27, v54, 0x3ed4b147, v77
	v_add_f32_e32 v0, v0, v5
	v_fma_f32 v52, 0xbf75a155, v53, -v83
	v_mul_f32_e32 v81, 0x3f68dda4, v70
	v_mul_f32_e32 v86, 0xbf4178ce, v58
	v_add_f32_e32 v3, v27, v3
	v_fmamk_f32 v27, v62, 0x3f575c64, v73
	;; [unrolled: 6-line block ×4, first 2 shown]
	v_add_f32_e32 v52, v52, v5
	v_fma_f32 v90, 0xbe11bafb, v53, -v92
	v_mul_f32_e32 v89, 0xbf0a6770, v71
	v_mul_f32_e32 v93, 0xbf0a6770, v70
	v_fma_f32 v85, 0x3f575c64, v63, -v80
	v_add_f32_e32 v3, v87, v3
	v_add_f32_e32 v52, v90, v52
	v_fmamk_f32 v90, v54, 0x3f575c64, v89
	v_fma_f32 v96, 0x3f575c64, v55, -v93
	v_mul_f32_e32 v87, 0xbe903f40, v79
	v_mul_f32_e32 v94, 0xbe903f40, v78
	;; [unrolled: 1-line block ×5, first 2 shown]
	v_add_f32_e32 v97, v85, v0
	v_add_f32_e32 v0, v90, v3
	;; [unrolled: 1-line block ×3, first 2 shown]
	v_fmamk_f32 v52, v62, 0xbf75a155, v87
	v_fma_f32 v96, 0xbf75a155, v63, -v94
	v_mul_f32_e32 v85, 0x3f68dda4, v69
	v_mul_f32_e32 v90, 0x3f68dda4, v74
	v_fma_f32 v26, 0x3f575c64, v67, -v65
	v_fmamk_f32 v95, v66, 0xbf27a4f4, v75
	v_fma_f32 v98, 0xbf27a4f4, v67, -v84
	v_add_f32_e32 v52, v52, v0
	v_add_f32_e32 v96, v96, v3
	v_fmamk_f32 v99, v66, 0x3ed4b147, v85
	v_fma_f32 v100, 0x3ed4b147, v67, -v90
	v_add_f32_e32 v3, v26, v1
	v_add_f32_e32 v0, v95, v27
	;; [unrolled: 1-line block ×5, first 2 shown]
	v_mul_lo_u16 v52, v51, 11
	s_barrier
	buffer_gl0_inv
	s_and_saveexec_b32 s4, vcc_lo
	s_cbranch_execz .LBB0_7
; %bb.6:
	v_mul_f32_e32 v95, 0xbf75a155, v64
	v_mul_f32_e32 v101, 0x3f575c64, v53
	v_mul_f32_e32 v106, 0xbf27a4f4, v55
	v_mul_f32_e32 v58, 0xbe903f40, v58
	v_mul_f32_e32 v68, 0x3f0a6770, v68
	v_fmamk_f32 v100, v47, 0x3e903f40, v95
	v_fmamk_f32 v105, v61, 0xbf0a6770, v101
	v_fmac_f32_e32 v95, 0xbe903f40, v47
	v_fmamk_f32 v109, v39, 0xbf75a155, v58
	v_fmac_f32_e32 v101, 0x3f0a6770, v61
	v_add_f32_e32 v100, v100, v5
	v_mul_f32_e32 v96, 0x3f575c64, v39
	v_add_f32_e32 v95, v95, v5
	v_mul_f32_e32 v97, 0x3f575c64, v64
	v_mul_f32_e32 v98, 0x3ed4b147, v39
	v_add_f32_e32 v100, v105, v100
	v_fmamk_f32 v105, v70, 0x3f4178ce, v106
	v_mul_f32_e32 v99, 0x3ed4b147, v64
	v_mul_f32_e32 v102, 0xbe11bafb, v39
	;; [unrolled: 1-line block ×4, first 2 shown]
	v_add_f32_e32 v47, v105, v100
	v_mul_f32_e32 v100, 0x3ed4b147, v63
	v_add_f32_e32 v105, v109, v4
	v_fmamk_f32 v109, v45, 0x3f575c64, v68
	v_mul_f32_e32 v64, 0xbf27a4f4, v64
	v_add_f32_e32 v95, v101, v95
	v_fmac_f32_e32 v106, 0xbf4178ce, v70
	v_fma_f32 v39, 0xbf75a155, v39, -v58
	v_add_f32_e32 v105, v109, v105
	v_fmamk_f32 v109, v78, 0xbf68dda4, v100
	v_mul_f32_e32 v107, 0x3ed4b147, v45
	v_mul_f32_e32 v108, 0x3ed4b147, v53
	;; [unrolled: 1-line block ×5, first 2 shown]
	v_add_f32_e32 v47, v109, v47
	v_mul_f32_e32 v109, 0xbf75a155, v45
	v_add_f32_e32 v95, v106, v95
	v_mul_f32_e32 v106, 0xbf75a155, v53
	v_fmac_f32_e32 v100, 0x3f68dda4, v78
	v_mul_f32_e32 v78, 0xbe11bafb, v45
	v_mul_f32_e32 v53, 0xbe11bafb, v53
	v_fma_f32 v45, 0x3f575c64, v45, -v68
	v_add_f32_e32 v64, v91, v64
	v_add_f32_e32 v39, v39, v4
	v_fmamk_f32 v101, v54, 0xbf27a4f4, v61
	v_mul_f32_e32 v79, 0x3f68dda4, v79
	v_add_f32_e32 v95, v100, v95
	v_mul_f32_e32 v100, 0xbe11bafb, v55
	v_mul_f32_e32 v68, 0xbf75a155, v55
	v_add_f32_e32 v53, v92, v53
	v_mul_f32_e32 v92, 0x3ed4b147, v55
	v_mul_f32_e32 v55, 0x3f575c64, v55
	v_add_f32_e32 v64, v64, v5
	v_add_f32_e32 v39, v45, v39
	v_mul_f32_e32 v45, 0xbe11bafb, v67
	v_add_f32_e32 v101, v101, v105
	v_fmamk_f32 v105, v62, 0x3ed4b147, v79
	v_fma_f32 v61, 0xbf27a4f4, v54, -v61
	v_add_f32_e32 v53, v53, v64
	v_add_f32_e32 v55, v93, v55
	v_fmamk_f32 v93, v74, 0x3f7d64f0, v45
	v_fmac_f32_e32 v45, 0xbf7d64f0, v74
	v_mul_f32_e32 v74, 0xbf75a155, v63
	v_sub_f32_e32 v86, v104, v86
	v_add_f32_e32 v101, v105, v101
	v_mul_f32_e32 v105, 0xbe11bafb, v54
	v_mul_f32_e32 v58, 0xbf75a155, v54
	;; [unrolled: 1-line block ×4, first 2 shown]
	v_add_f32_e32 v39, v61, v39
	v_add_f32_e32 v53, v55, v53
	;; [unrolled: 1-line block ×3, first 2 shown]
	v_fma_f32 v79, 0x3ed4b147, v62, -v79
	v_sub_f32_e32 v78, v78, v88
	v_add_f32_e32 v86, v86, v4
	v_add_f32_e32 v7, v7, v5
	;; [unrolled: 1-line block ×6, first 2 shown]
	v_sub_f32_e32 v86, v54, v89
	v_mul_f32_e32 v39, 0xbf7d64f0, v69
	v_add_f32_e32 v54, v82, v103
	v_add_f32_e32 v7, v21, v7
	;; [unrolled: 1-line block ×3, first 2 shown]
	v_mul_f32_e32 v64, 0xbf27a4f4, v62
	v_mul_f32_e32 v55, 0xbe11bafb, v62
	;; [unrolled: 1-line block ×8, first 2 shown]
	v_add_f32_e32 v82, v83, v106
	v_fmamk_f32 v83, v66, 0xbe11bafb, v39
	v_fma_f32 v103, 0xbe11bafb, v66, -v39
	v_add_f32_e32 v39, v93, v47
	v_add_f32_e32 v47, v54, v5
	v_add_f32_e32 v7, v23, v7
	v_add_f32_e32 v20, v22, v20
	v_mul_f32_e32 v61, 0xbf27a4f4, v63
	v_mul_f32_e32 v94, 0xbe11bafb, v63
	;; [unrolled: 1-line block ×3, first 2 shown]
	v_add_f32_e32 v54, v45, v95
	v_add_f32_e32 v45, v90, v67
	;; [unrolled: 1-line block ×3, first 2 shown]
	v_sub_f32_e32 v62, v62, v87
	v_add_f32_e32 v82, v82, v47
	v_add_f32_e32 v81, v81, v92
	;; [unrolled: 1-line block ×6, first 2 shown]
	v_sub_f32_e32 v62, v102, v76
	v_add_f32_e32 v67, v81, v82
	v_add_f32_e32 v63, v80, v63
	v_add_f32_e32 v57, v57, v99
	v_sub_f32_e32 v36, v98, v36
	v_add_f32_e32 v29, v29, v97
	v_sub_f32_e32 v23, v96, v28
	v_add_f32_e32 v7, v19, v7
	v_add_f32_e32 v16, v18, v16
	;; [unrolled: 1-line block ×10, first 2 shown]
	v_sub_f32_e32 v20, v107, v30
	v_add_f32_e32 v7, v13, v7
	v_add_f32_e32 v12, v12, v16
	v_sub_f32_e32 v72, v109, v72
	v_add_f32_e32 v59, v59, v70
	v_sub_f32_e32 v46, v71, v46
	v_add_f32_e32 v5, v17, v5
	v_add_f32_e32 v17, v33, v100
	v_add_f32_e32 v4, v20, v4
	v_sub_f32_e32 v13, v105, v32
	v_add_f32_e32 v7, v15, v7
	v_add_f32_e32 v12, v14, v12
	;; [unrolled: 4-line block ×3, first 2 shown]
	v_add_f32_e32 v36, v46, v36
	v_sub_f32_e32 v46, v58, v48
	v_mul_f32_e32 v88, 0xbf75a155, v66
	v_add_f32_e32 v5, v17, v5
	v_add_f32_e32 v16, v35, v61
	;; [unrolled: 1-line block ×3, first 2 shown]
	v_sub_f32_e32 v13, v64, v34
	v_add_f32_e32 v7, v9, v7
	v_add_f32_e32 v8, v8, v12
	v_mul_f32_e32 v111, 0x3f575c64, v66
	v_mul_f32_e32 v89, 0xbf27a4f4, v66
	v_add_f32_e32 v57, v67, v63
	v_add_f32_e32 v62, v70, v62
	v_sub_f32_e32 v63, v104, v73
	v_add_f32_e32 v56, v56, v59
	v_add_f32_e32 v59, v60, v94
	;; [unrolled: 1-line block ×3, first 2 shown]
	v_sub_f32_e32 v40, v55, v40
	v_mul_f32_e32 v66, 0x3ed4b147, v66
	v_add_f32_e32 v5, v16, v5
	v_add_f32_e32 v9, v38, v110
	;; [unrolled: 1-line block ×3, first 2 shown]
	v_sub_f32_e32 v12, v88, v37
	v_add_f32_e32 v11, v11, v7
	v_add_f32_e32 v13, v10, v8
	v_mov_b32_e32 v14, 3
	v_add_f32_e32 v60, v63, v62
	v_sub_f32_e32 v62, v89, v75
	v_add_f32_e32 v48, v59, v56
	v_add_f32_e32 v58, v65, v78
	;; [unrolled: 1-line block ×3, first 2 shown]
	v_sub_f32_e32 v22, v111, v41
	v_sub_f32_e32 v66, v66, v85
	v_add_f32_e32 v8, v9, v5
	v_add_f32_e32 v7, v12, v4
	;; [unrolled: 1-line block ×4, first 2 shown]
	v_lshlrev_b32_sdwa v4, v14, v52 dst_sel:DWORD dst_unused:UNUSED_PAD src0_sel:DWORD src1_sel:WORD_0
	v_add_f32_e32 v56, v62, v60
	v_add_f32_e32 v6, v58, v48
	;; [unrolled: 1-line block ×6, first 2 shown]
	ds_write2_b64 v4, v[9:10], v[7:8] offset1:1
	ds_write2_b64 v4, v[5:6], v[56:57] offset0:2 offset1:3
	ds_write2_b64 v4, v[46:47], v[53:54] offset0:4 offset1:5
	;; [unrolled: 1-line block ×4, first 2 shown]
	ds_write_b64 v4, v[43:44] offset:80
.LBB0_7:
	s_or_b32 exec_lo, exec_lo, s4
	v_and_b32_e32 v4, 0xff, v51
	s_load_dwordx4 s[4:7], s[0:1], 0x0
	s_waitcnt lgkmcnt(0)
	s_barrier
	buffer_gl0_inv
	v_mul_lo_u16 v4, 0x75, v4
	v_mov_b32_e32 v34, 0x4d
	v_cmp_gt_u16_e64 s0, 33, v51
	v_lshrrev_b16 v4, 8, v4
	v_sub_nc_u16 v5, v51, v4
	v_lshrrev_b16 v5, 1, v5
	v_and_b32_e32 v5, 0x7f, v5
	v_add_nc_u16 v4, v5, v4
	v_lshrrev_b16 v32, 3, v4
	v_mul_lo_u16 v4, v32, 11
	v_mul_u32_u24_sdwa v32, v32, v34 dst_sel:DWORD dst_unused:UNUSED_PAD src0_sel:WORD_0 src1_sel:DWORD
	v_sub_nc_u16 v4, v51, v4
	v_and_b32_e32 v33, 0xff, v4
	v_mul_u32_u24_e32 v4, 6, v33
	v_add_lshl_u32 v53, v32, v33, 3
	v_lshlrev_b32_e32 v4, 3, v4
	s_clause 0x2
	global_load_dwordx4 v[12:15], v4, s[2:3]
	global_load_dwordx4 v[8:11], v4, s[2:3] offset:16
	global_load_dwordx4 v[4:7], v4, s[2:3] offset:32
	ds_read2_b64 v[16:19], v50 offset1:44
	ds_read2_b64 v[20:23], v50 offset0:88 offset1:132
	ds_read2_b64 v[28:31], v50 offset0:176 offset1:220
	ds_read_b64 v[24:25], v50 offset:2112
	s_waitcnt vmcnt(0) lgkmcnt(0)
	s_barrier
	buffer_gl0_inv
	v_mul_f32_e32 v32, v19, v13
	v_mul_f32_e32 v33, v18, v13
	;; [unrolled: 1-line block ×12, first 2 shown]
	v_fma_f32 v18, v18, v12, -v32
	v_fmac_f32_e32 v33, v19, v12
	v_fma_f32 v19, v20, v14, -v34
	v_fmac_f32_e32 v35, v21, v14
	;; [unrolled: 2-line block ×6, first 2 shown]
	v_add_f32_e32 v24, v18, v22
	v_add_f32_e32 v25, v33, v46
	;; [unrolled: 1-line block ×4, first 2 shown]
	v_sub_f32_e32 v18, v18, v22
	v_sub_f32_e32 v22, v33, v46
	;; [unrolled: 1-line block ×4, first 2 shown]
	v_add_f32_e32 v30, v20, v21
	v_add_f32_e32 v31, v37, v39
	v_sub_f32_e32 v20, v21, v20
	v_sub_f32_e32 v21, v39, v37
	v_add_f32_e32 v32, v28, v24
	v_add_f32_e32 v33, v29, v25
	v_sub_f32_e32 v34, v28, v24
	v_sub_f32_e32 v35, v29, v25
	;; [unrolled: 1-line block ×6, first 2 shown]
	v_add_f32_e32 v36, v20, v19
	v_add_f32_e32 v37, v21, v23
	v_sub_f32_e32 v38, v20, v19
	v_sub_f32_e32 v39, v21, v23
	;; [unrolled: 1-line block ×3, first 2 shown]
	v_add_f32_e32 v30, v30, v32
	v_add_f32_e32 v31, v31, v33
	v_sub_f32_e32 v23, v23, v22
	v_sub_f32_e32 v20, v18, v20
	v_sub_f32_e32 v21, v22, v21
	v_add_f32_e32 v18, v36, v18
	v_add_f32_e32 v22, v37, v22
	v_mul_f32_e32 v24, 0x3f4a47b2, v24
	v_mul_f32_e32 v25, 0x3f4a47b2, v25
	;; [unrolled: 1-line block ×7, first 2 shown]
	v_add_f32_e32 v16, v16, v30
	v_add_f32_e32 v17, v17, v31
	v_mul_f32_e32 v39, 0x3f5ff5aa, v23
	v_fmamk_f32 v28, v28, 0x3d64c772, v24
	v_fmamk_f32 v29, v29, 0x3d64c772, v25
	v_fma_f32 v32, 0x3f3bfb3b, v34, -v32
	v_fma_f32 v33, 0x3f3bfb3b, v35, -v33
	;; [unrolled: 1-line block ×4, first 2 shown]
	v_fmamk_f32 v34, v20, 0x3eae86e6, v36
	v_fmamk_f32 v35, v21, 0x3eae86e6, v37
	v_fma_f32 v36, 0x3f5ff5aa, v19, -v36
	v_fma_f32 v38, 0xbeae86e6, v20, -v38
	v_fmamk_f32 v19, v30, 0xbf955555, v16
	v_fmamk_f32 v20, v31, 0xbf955555, v17
	v_fma_f32 v37, 0x3f5ff5aa, v23, -v37
	v_fma_f32 v39, 0xbeae86e6, v21, -v39
	v_fmac_f32_e32 v34, 0x3ee1c552, v18
	v_fmac_f32_e32 v35, 0x3ee1c552, v22
	v_add_f32_e32 v40, v28, v19
	v_add_f32_e32 v41, v29, v20
	v_fmac_f32_e32 v36, 0x3ee1c552, v18
	v_fmac_f32_e32 v37, 0x3ee1c552, v22
	;; [unrolled: 1-line block ×4, first 2 shown]
	v_add_f32_e32 v28, v32, v19
	v_add_f32_e32 v24, v24, v19
	;; [unrolled: 1-line block ×5, first 2 shown]
	v_sub_f32_e32 v19, v41, v34
	v_add_f32_e32 v20, v39, v24
	v_sub_f32_e32 v21, v25, v38
	v_sub_f32_e32 v22, v28, v37
	v_add_f32_e32 v23, v36, v29
	v_add_f32_e32 v28, v37, v28
	v_sub_f32_e32 v29, v29, v36
	v_sub_f32_e32 v30, v24, v39
	v_add_f32_e32 v31, v38, v25
	v_sub_f32_e32 v24, v40, v35
	v_add_f32_e32 v25, v34, v41
	ds_write2_b64 v53, v[16:17], v[18:19] offset1:11
	ds_write2_b64 v53, v[20:21], v[22:23] offset0:22 offset1:33
	ds_write2_b64 v53, v[28:29], v[30:31] offset0:44 offset1:55
	ds_write_b64 v53, v[24:25] offset:528
	s_waitcnt lgkmcnt(0)
	s_barrier
	buffer_gl0_inv
	ds_read2_b64 v[32:35], v50 offset1:77
	ds_read2_b64 v[36:39], v50 offset0:154 offset1:231
	s_and_saveexec_b32 s1, s0
	s_cbranch_execz .LBB0_9
; %bb.8:
	v_add_nc_u32_e32 v16, 0x400, v50
	ds_read2_b64 v[28:31], v50 offset0:44 offset1:121
	ds_read2_b64 v[24:27], v16 offset0:70 offset1:147
.LBB0_9:
	s_or_b32 exec_lo, exec_lo, s1
	v_add_nc_u32_e32 v18, 44, v51
	v_subrev_nc_u32_e32 v19, 33, v51
	v_mad_u64_u32 v[16:17], null, v51, 24, s[2:3]
	s_clause 0x1
	global_load_dwordx4 v[20:23], v[16:17], off offset:528
	global_load_dwordx2 v[47:48], v[16:17], off offset:544
	v_cndmask_b32_e64 v18, v19, v18, s0
	v_mul_i32_i24_e32 v16, 24, v18
	v_mul_hi_i32_i24_e32 v17, 24, v18
	v_add_co_u32 v40, s1, s2, v16
	v_add_co_ci_u32_e64 v41, s1, s3, v17, s1
	s_clause 0x1
	global_load_dwordx4 v[16:19], v[40:41], off offset:528
	global_load_dwordx2 v[45:46], v[40:41], off offset:544
	s_waitcnt vmcnt(3) lgkmcnt(1)
	v_mul_f32_e32 v40, v35, v21
	v_mul_f32_e32 v41, v34, v21
	s_waitcnt lgkmcnt(0)
	v_mul_f32_e32 v54, v37, v23
	v_mul_f32_e32 v55, v36, v23
	s_waitcnt vmcnt(2)
	v_mul_f32_e32 v56, v39, v48
	v_mul_f32_e32 v57, v38, v48
	v_fma_f32 v34, v34, v20, -v40
	v_fmac_f32_e32 v41, v35, v20
	v_fma_f32 v35, v36, v22, -v54
	v_fmac_f32_e32 v55, v37, v22
	;; [unrolled: 2-line block ×3, first 2 shown]
	v_sub_f32_e32 v35, v32, v35
	v_sub_f32_e32 v37, v33, v55
	v_sub_f32_e32 v36, v34, v36
	v_sub_f32_e32 v38, v41, v57
	s_waitcnt vmcnt(1)
	v_mul_f32_e32 v39, v31, v17
	v_mul_f32_e32 v40, v30, v17
	;; [unrolled: 1-line block ×4, first 2 shown]
	s_waitcnt vmcnt(0)
	v_mul_f32_e32 v56, v27, v46
	v_mul_f32_e32 v57, v26, v46
	v_fma_f32 v58, v32, 2.0, -v35
	v_fma_f32 v59, v33, 2.0, -v37
	;; [unrolled: 1-line block ×4, first 2 shown]
	v_add_f32_e32 v33, v37, v36
	v_fma_f32 v36, v30, v16, -v39
	v_fmac_f32_e32 v40, v31, v16
	v_fma_f32 v24, v24, v18, -v54
	v_fmac_f32_e32 v55, v25, v18
	;; [unrolled: 2-line block ×3, first 2 shown]
	v_sub_f32_e32 v32, v35, v38
	v_sub_f32_e32 v30, v58, v34
	;; [unrolled: 1-line block ×7, first 2 shown]
	v_fma_f32 v26, v35, 2.0, -v32
	v_fma_f32 v28, v28, 2.0, -v38
	;; [unrolled: 1-line block ×6, first 2 shown]
	v_sub_f32_e32 v36, v38, v34
	v_add_f32_e32 v37, v41, v25
	v_sub_f32_e32 v34, v28, v35
	v_sub_f32_e32 v35, v29, v39
	v_fma_f32 v24, v58, 2.0, -v30
	v_fma_f32 v25, v59, 2.0, -v31
	;; [unrolled: 1-line block ×6, first 2 shown]
	ds_write2_b64 v50, v[24:25], v[26:27] offset1:77
	ds_write2_b64 v50, v[30:31], v[32:33] offset0:154 offset1:231
	s_and_saveexec_b32 s1, s0
	s_cbranch_execz .LBB0_11
; %bb.10:
	v_add_nc_u32_e32 v28, 0x400, v50
	ds_write2_b64 v50, v[38:39], v[40:41] offset0:44 offset1:121
	ds_write2_b64 v28, v[34:35], v[36:37] offset0:70 offset1:147
.LBB0_11:
	s_or_b32 exec_lo, exec_lo, s1
	s_waitcnt lgkmcnt(0)
	s_barrier
	buffer_gl0_inv
	s_and_saveexec_b32 s2, vcc_lo
	s_cbranch_execz .LBB0_13
; %bb.12:
	v_add_co_u32 v56, s1, s14, v50
	v_add_co_ci_u32_e64 v57, null, s15, 0, s1
	v_add_nc_u32_e32 v94, 0x400, v50
	v_add_co_u32 v28, s1, 0x800, v56
	v_add_co_ci_u32_e64 v29, s1, 0, v57, s1
	v_add_co_u32 v54, s1, 0x9a0, v56
	v_add_co_ci_u32_e64 v55, s1, 0, v57, s1
	global_load_dwordx2 v[28:29], v[28:29], off offset:416
	v_add_co_u32 v56, s1, 0x1000, v56
	s_clause 0x4
	global_load_dwordx2 v[74:75], v[54:55], off offset:224
	global_load_dwordx2 v[76:77], v[54:55], off offset:448
	;; [unrolled: 1-line block ×5, first 2 shown]
	v_add_co_ci_u32_e64 v57, s1, 0, v57, s1
	s_clause 0x4
	global_load_dwordx2 v[84:85], v[54:55], off offset:1344
	global_load_dwordx2 v[86:87], v[54:55], off offset:1568
	;; [unrolled: 1-line block ×5, first 2 shown]
	ds_read_b64 v[54:55], v50
	s_waitcnt vmcnt(10) lgkmcnt(0)
	v_mul_f32_e32 v56, v55, v29
	v_mul_f32_e32 v57, v54, v29
	v_fma_f32 v56, v54, v28, -v56
	v_fmac_f32_e32 v57, v55, v28
	ds_write_b64 v50, v[56:57]
	ds_read2_b64 v[54:57], v50 offset0:28 offset1:56
	ds_read2_b64 v[58:61], v50 offset0:84 offset1:112
	;; [unrolled: 1-line block ×5, first 2 shown]
	s_waitcnt vmcnt(9) lgkmcnt(4)
	v_mul_f32_e32 v28, v55, v75
	v_mul_f32_e32 v29, v54, v75
	s_waitcnt vmcnt(8)
	v_mul_f32_e32 v95, v57, v77
	v_mul_f32_e32 v75, v56, v77
	s_waitcnt vmcnt(7) lgkmcnt(3)
	v_mul_f32_e32 v96, v59, v79
	v_mul_f32_e32 v77, v58, v79
	s_waitcnt vmcnt(6)
	v_mul_f32_e32 v97, v61, v81
	v_mul_f32_e32 v79, v60, v81
	;; [unrolled: 6-line block ×4, first 2 shown]
	s_waitcnt vmcnt(0) lgkmcnt(0)
	v_mul_f32_e32 v102, v71, v93
	v_mul_f32_e32 v89, v70, v93
	;; [unrolled: 1-line block ×4, first 2 shown]
	v_fma_f32 v28, v54, v74, -v28
	v_fmac_f32_e32 v29, v55, v74
	v_fma_f32 v74, v56, v76, -v95
	v_fmac_f32_e32 v75, v57, v76
	;; [unrolled: 2-line block ×10, first 2 shown]
	ds_write2_b64 v50, v[28:29], v[74:75] offset0:28 offset1:56
	ds_write2_b64 v50, v[76:77], v[78:79] offset0:84 offset1:112
	;; [unrolled: 1-line block ×5, first 2 shown]
.LBB0_13:
	s_or_b32 exec_lo, exec_lo, s2
	s_waitcnt lgkmcnt(0)
	s_barrier
	buffer_gl0_inv
	s_and_saveexec_b32 s1, vcc_lo
	s_cbranch_execz .LBB0_15
; %bb.14:
	ds_read2_b64 v[24:27], v50 offset1:28
	ds_read2_b64 v[30:33], v50 offset0:56 offset1:84
	ds_read2_b64 v[38:41], v50 offset0:112 offset1:140
	;; [unrolled: 1-line block ×4, first 2 shown]
	ds_read_b64 v[43:44], v50 offset:2240
.LBB0_15:
	s_or_b32 exec_lo, exec_lo, s1
	s_waitcnt lgkmcnt(0)
	v_sub_f32_e32 v64, v27, v44
	v_add_f32_e32 v70, v44, v27
	v_add_f32_e32 v54, v43, v26
	v_sub_f32_e32 v57, v26, v43
	v_sub_f32_e32 v65, v31, v3
	v_mul_f32_e32 v75, 0xbf4178ce, v64
	v_mul_f32_e32 v78, 0xbf27a4f4, v70
	v_add_f32_e32 v72, v3, v31
	v_add_f32_e32 v55, v2, v30
	v_mul_f32_e32 v74, 0x3f7d64f0, v65
	v_fma_f32 v28, 0xbf27a4f4, v54, -v75
	v_fmamk_f32 v29, v57, 0xbf4178ce, v78
	v_sub_f32_e32 v56, v30, v2
	v_mul_f32_e32 v80, 0xbe11bafb, v72
	v_sub_f32_e32 v66, v33, v1
	v_add_f32_e32 v28, v24, v28
	v_add_f32_e32 v29, v25, v29
	v_fma_f32 v60, 0xbe11bafb, v55, -v74
	v_add_f32_e32 v73, v1, v33
	v_fmamk_f32 v61, v56, 0x3f7d64f0, v80
	v_add_f32_e32 v58, v0, v32
	v_mul_f32_e32 v76, 0xbf0a6770, v66
	v_sub_f32_e32 v59, v32, v0
	v_mul_f32_e32 v81, 0x3f575c64, v73
	v_add_f32_e32 v28, v60, v28
	v_add_f32_e32 v29, v61, v29
	v_sub_f32_e32 v67, v39, v37
	v_fma_f32 v61, 0x3f575c64, v58, -v76
	v_add_f32_e32 v71, v37, v39
	v_fmamk_f32 v62, v59, 0xbf0a6770, v81
	v_add_f32_e32 v60, v36, v38
	v_mul_f32_e32 v77, 0xbe903f40, v67
	v_add_f32_e32 v28, v61, v28
	v_sub_f32_e32 v61, v38, v36
	v_mul_f32_e32 v83, 0xbf75a155, v71
	v_sub_f32_e32 v68, v41, v35
	v_add_f32_e32 v69, v35, v41
	v_add_f32_e32 v29, v62, v29
	v_fma_f32 v84, 0xbf75a155, v60, -v77
	v_fmamk_f32 v85, v61, 0xbe903f40, v83
	v_add_f32_e32 v62, v34, v40
	v_sub_f32_e32 v63, v40, v34
	v_mul_f32_e32 v79, 0x3f68dda4, v68
	v_mul_f32_e32 v82, 0x3ed4b147, v69
	v_add_f32_e32 v28, v84, v28
	v_add_f32_e32 v29, v85, v29
	v_fma_f32 v84, 0x3ed4b147, v62, -v79
	v_fmamk_f32 v85, v63, 0x3f68dda4, v82
	s_barrier
	buffer_gl0_inv
	v_add_f32_e32 v28, v84, v28
	v_add_f32_e32 v29, v85, v29
	s_and_saveexec_b32 s1, vcc_lo
	s_cbranch_execz .LBB0_17
; %bb.16:
	v_mul_f32_e32 v84, 0xbe903f40, v57
	v_mul_f32_e32 v85, 0x3f0a6770, v56
	;; [unrolled: 1-line block ×5, first 2 shown]
	v_fmamk_f32 v89, v70, 0xbf75a155, v84
	v_fmamk_f32 v93, v72, 0x3f575c64, v85
	v_mul_f32_e32 v101, 0x3f0a6770, v65
	v_fma_f32 v100, 0xbf75a155, v54, -v97
	v_mul_f32_e32 v104, 0xbf4178ce, v66
	v_add_f32_e32 v89, v25, v89
	v_mul_f32_e32 v87, 0xbf4178ce, v57
	v_fma_f32 v103, 0x3f575c64, v55, -v101
	v_add_f32_e32 v100, v24, v100
	v_fma_f32 v84, 0xbf75a155, v70, -v84
	v_add_f32_e32 v89, v93, v89
	v_fmamk_f32 v93, v73, 0xbf27a4f4, v94
	v_mul_f32_e32 v105, 0x3f68dda4, v67
	v_add_f32_e32 v100, v103, v100
	v_fma_f32 v103, 0xbf27a4f4, v58, -v104
	v_fmac_f32_e32 v97, 0xbf75a155, v54
	v_add_f32_e32 v89, v93, v89
	v_fmamk_f32 v93, v71, 0x3ed4b147, v98
	v_mul_f32_e32 v90, 0x3f7d64f0, v56
	v_add_f32_e32 v84, v25, v84
	v_fma_f32 v107, 0x3f575c64, v72, -v85
	v_add_f32_e32 v100, v103, v100
	v_add_f32_e32 v89, v93, v89
	v_mul_f32_e32 v93, 0xbf7d64f0, v63
	v_fma_f32 v103, 0x3ed4b147, v60, -v105
	v_add_f32_e32 v97, v24, v97
	v_fmac_f32_e32 v101, 0x3f575c64, v55
	v_sub_f32_e32 v78, v78, v87
	v_fmamk_f32 v106, v69, 0xbe11bafb, v93
	v_mul_f32_e32 v92, 0xbf0a6770, v59
	v_add_f32_e32 v84, v107, v84
	v_add_f32_e32 v97, v101, v97
	v_fmac_f32_e32 v104, 0xbf27a4f4, v58
	v_add_f32_e32 v85, v106, v89
	v_fma_f32 v89, 0xbf27a4f4, v73, -v94
	v_add_f32_e32 v94, v103, v100
	v_mul_f32_e32 v100, 0xbf7d64f0, v68
	v_add_f32_e32 v78, v25, v78
	v_sub_f32_e32 v80, v80, v90
	v_mul_f32_e32 v86, 0xbf27a4f4, v54
	v_mul_f32_e32 v96, 0xbe903f40, v61
	v_add_f32_e32 v84, v89, v84
	v_fma_f32 v89, 0x3ed4b147, v71, -v98
	v_fma_f32 v87, 0xbe11bafb, v62, -v100
	;; [unrolled: 1-line block ×3, first 2 shown]
	v_add_f32_e32 v93, v104, v97
	v_fmac_f32_e32 v105, 0x3ed4b147, v60
	v_add_f32_e32 v78, v80, v78
	v_sub_f32_e32 v80, v81, v92
	v_mul_f32_e32 v88, 0xbe11bafb, v55
	v_add_f32_e32 v89, v89, v84
	v_add_f32_e32 v84, v87, v94
	;; [unrolled: 1-line block ×4, first 2 shown]
	v_fmac_f32_e32 v100, 0xbe11bafb, v62
	v_add_f32_e32 v78, v80, v78
	v_sub_f32_e32 v83, v83, v96
	v_mul_f32_e32 v86, 0xbe11bafb, v70
	v_mul_f32_e32 v91, 0x3f575c64, v58
	;; [unrolled: 1-line block ×3, first 2 shown]
	v_add_f32_e32 v75, v24, v75
	v_add_f32_e32 v74, v88, v74
	;; [unrolled: 1-line block ×4, first 2 shown]
	v_fmamk_f32 v83, v57, 0x3f7d64f0, v86
	v_mul_f32_e32 v87, 0xbf75a155, v72
	v_mul_f32_e32 v95, 0xbf75a155, v60
	v_add_f32_e32 v74, v74, v75
	v_add_f32_e32 v75, v91, v76
	v_sub_f32_e32 v76, v82, v102
	v_add_f32_e32 v82, v25, v83
	v_fmamk_f32 v83, v56, 0xbe903f40, v87
	v_mul_f32_e32 v88, 0x3ed4b147, v73
	v_mul_f32_e32 v99, 0x3ed4b147, v62
	v_add_f32_e32 v74, v75, v74
	v_add_f32_e32 v77, v95, v77
	;; [unrolled: 1-line block ×4, first 2 shown]
	v_fmamk_f32 v78, v59, 0xbf68dda4, v88
	v_mul_f32_e32 v82, 0x3f575c64, v71
	v_add_f32_e32 v81, v90, v89
	v_add_f32_e32 v74, v77, v74
	;; [unrolled: 1-line block ×3, first 2 shown]
	v_mul_f32_e32 v83, 0xbf7d64f0, v64
	v_add_f32_e32 v76, v78, v76
	v_fmamk_f32 v78, v61, 0x3f0a6770, v82
	v_mul_f32_e32 v89, 0xbf27a4f4, v69
	v_add_f32_e32 v74, v77, v74
	v_fmamk_f32 v77, v54, 0xbe11bafb, v83
	;; [unrolled: 3-line block ×11, first 2 shown]
	v_mul_f32_e32 v70, 0x3f575c64, v70
	v_add_f32_e32 v76, v79, v78
	v_mul_f32_e32 v72, 0x3ed4b147, v72
	v_mul_f32_e32 v73, 0xbe11bafb, v73
	v_add_f32_e32 v79, v100, v95
	v_fmamk_f32 v95, v63, 0xbf0a6770, v101
	v_add_f32_e32 v27, v27, v25
	v_fmamk_f32 v105, v56, 0x3f68dda4, v72
	v_mul_f32_e32 v71, 0xbf27a4f4, v71
	v_add_f32_e32 v26, v26, v24
	v_add_f32_e32 v79, v95, v79
	v_fmamk_f32 v95, v57, 0x3f0a6770, v70
	v_add_f32_e32 v27, v31, v27
	v_mul_f32_e32 v99, 0xbf68dda4, v64
	v_fmamk_f32 v31, v61, 0x3f4178ce, v71
	v_mul_f32_e32 v64, 0xbf0a6770, v64
	v_add_f32_e32 v95, v25, v95
	v_add_f32_e32 v27, v33, v27
	;; [unrolled: 1-line block ×3, first 2 shown]
	v_mul_f32_e32 v33, 0xbf68dda4, v65
	v_fmac_f32_e32 v86, 0xbf7d64f0, v57
	v_add_f32_e32 v95, v105, v95
	v_fmamk_f32 v105, v59, 0x3f7d64f0, v73
	v_add_f32_e32 v27, v39, v27
	v_add_f32_e32 v26, v32, v26
	v_mul_f32_e32 v32, 0xbf75a155, v69
	v_fmamk_f32 v39, v55, 0x3ed4b147, v33
	v_add_f32_e32 v95, v105, v95
	v_add_f32_e32 v27, v41, v27
	;; [unrolled: 1-line block ×3, first 2 shown]
	v_mul_f32_e32 v38, 0xbf7d64f0, v66
	v_fmamk_f32 v41, v63, 0x3e903f40, v32
	v_add_f32_e32 v30, v31, v95
	v_fmamk_f32 v31, v54, 0x3f575c64, v64
	v_add_f32_e32 v35, v35, v27
	v_add_f32_e32 v26, v40, v26
	v_mul_f32_e32 v40, 0xbf4178ce, v67
	v_add_f32_e32 v27, v41, v30
	v_add_f32_e32 v31, v24, v31
	;; [unrolled: 1-line block ×4, first 2 shown]
	v_fmamk_f32 v34, v60, 0xbf27a4f4, v40
	v_mul_f32_e32 v35, 0xbe903f40, v68
	v_add_f32_e32 v31, v39, v31
	v_fmamk_f32 v39, v58, 0xbe11bafb, v38
	v_add_f32_e32 v1, v1, v30
	v_add_f32_e32 v26, v36, v26
	v_fmac_f32_e32 v87, 0x3e903f40, v56
	v_fmac_f32_e32 v88, 0x3f68dda4, v59
	v_add_f32_e32 v31, v39, v31
	v_add_f32_e32 v1, v3, v1
	;; [unrolled: 1-line block ×4, first 2 shown]
	v_fmac_f32_e32 v91, 0xbf68dda4, v57
	v_add_f32_e32 v30, v34, v31
	v_fmamk_f32 v31, v62, 0xbf75a155, v35
	v_add_f32_e32 v0, v2, v0
	v_add_f32_e32 v2, v87, v3
	v_fmac_f32_e32 v82, 0xbf0a6770, v61
	v_fmac_f32_e32 v94, 0xbf4178ce, v56
	v_add_f32_e32 v26, v31, v30
	v_fma_f32 v30, 0xbe11bafb, v54, -v83
	v_add_f32_e32 v2, v88, v2
	v_add_f32_e32 v31, v25, v91
	v_fmac_f32_e32 v89, 0xbf4178ce, v63
	v_fma_f32 v34, 0x3f575c64, v60, -v92
	v_add_f32_e32 v3, v24, v30
	v_fma_f32 v30, 0xbf75a155, v55, -v90
	v_add_f32_e32 v2, v82, v2
	v_add_f32_e32 v31, v94, v31
	v_fmac_f32_e32 v96, 0x3e903f40, v59
	v_fmac_f32_e32 v98, 0x3f7d64f0, v61
	v_add_f32_e32 v3, v30, v3
	v_fma_f32 v30, 0x3ed4b147, v58, -v93
	v_fmamk_f32 v78, v54, 0x3ed4b147, v99
	v_add_f32_e32 v31, v96, v31
	v_mul_f32_e32 v102, 0xbf4178ce, v65
	v_fmac_f32_e32 v70, 0xbf0a6770, v57
	v_add_f32_e32 v30, v30, v3
	v_add_f32_e32 v3, v89, v2
	v_fma_f32 v2, 0x3ed4b147, v54, -v99
	v_add_f32_e32 v78, v24, v78
	v_fmamk_f32 v100, v55, 0xbf27a4f4, v102
	v_add_f32_e32 v30, v34, v30
	v_fma_f32 v34, 0xbf27a4f4, v62, -v97
	v_add_f32_e32 v36, v24, v2
	v_mul_f32_e32 v103, 0x3e903f40, v66
	v_fma_f32 v37, 0xbf27a4f4, v55, -v102
	v_add_f32_e32 v25, v25, v70
	v_add_f32_e32 v2, v34, v30
	;; [unrolled: 1-line block ×3, first 2 shown]
	v_fma_f32 v31, 0x3f575c64, v54, -v64
	v_fmac_f32_e32 v72, 0xbf68dda4, v56
	v_add_f32_e32 v78, v100, v78
	v_fmamk_f32 v100, v58, 0xbf75a155, v103
	v_mul_f32_e32 v104, 0x3f7d64f0, v67
	v_add_f32_e32 v24, v24, v31
	v_fma_f32 v31, 0x3ed4b147, v55, -v33
	v_add_f32_e32 v34, v37, v36
	v_fma_f32 v36, 0xbf75a155, v58, -v103
	v_add_f32_e32 v25, v72, v25
	v_fmac_f32_e32 v73, 0xbf7d64f0, v59
	v_add_f32_e32 v24, v31, v24
	v_fma_f32 v31, 0xbe11bafb, v58, -v38
	v_add_f32_e32 v78, v100, v78
	v_fmamk_f32 v100, v60, 0xbe11bafb, v104
	v_mul_f32_e32 v106, 0x3f0a6770, v68
	v_add_f32_e32 v33, v36, v34
	v_fma_f32 v34, 0xbe11bafb, v60, -v104
	v_add_f32_e32 v25, v73, v25
	v_fmac_f32_e32 v71, 0xbf4178ce, v61
	v_add_f32_e32 v24, v31, v24
	v_fma_f32 v31, 0xbf27a4f4, v60, -v40
	v_mov_b32_e32 v36, 3
	v_add_f32_e32 v78, v100, v78
	v_fmamk_f32 v100, v62, 0x3f575c64, v106
	v_fmac_f32_e32 v101, 0x3f0a6770, v63
	v_add_f32_e32 v33, v34, v33
	v_fma_f32 v34, 0x3f575c64, v62, -v106
	v_add_f32_e32 v1, v44, v1
	v_add_f32_e32 v0, v43, v0
	;; [unrolled: 1-line block ×3, first 2 shown]
	v_fmac_f32_e32 v32, 0xbe903f40, v63
	v_add_f32_e32 v38, v31, v24
	v_fma_f32 v35, 0xbf75a155, v62, -v35
	v_lshlrev_b32_sdwa v36, v36, v52 dst_sel:DWORD dst_unused:UNUSED_PAD src0_sel:DWORD src1_sel:WORD_0
	v_add_f32_e32 v78, v100, v78
	v_add_f32_e32 v25, v101, v30
	;; [unrolled: 1-line block ×5, first 2 shown]
	ds_write2_b64 v36, v[0:1], v[26:27] offset1:1
	ds_write2_b64 v36, v[78:79], v[76:77] offset0:2 offset1:3
	ds_write2_b64 v36, v[74:75], v[80:81] offset0:4 offset1:5
	;; [unrolled: 1-line block ×4, first 2 shown]
	ds_write_b64 v36, v[30:31] offset:80
.LBB0_17:
	s_or_b32 exec_lo, exec_lo, s1
	s_waitcnt lgkmcnt(0)
	s_barrier
	buffer_gl0_inv
	ds_read2_b64 v[0:3], v50 offset1:44
	ds_read2_b64 v[24:27], v50 offset0:88 offset1:132
	ds_read2_b64 v[30:33], v50 offset0:176 offset1:220
	ds_read_b64 v[34:35], v50 offset:2112
	s_waitcnt lgkmcnt(0)
	s_barrier
	buffer_gl0_inv
	v_mul_f32_e32 v36, v13, v3
	v_mul_f32_e32 v13, v13, v2
	;; [unrolled: 1-line block ×12, first 2 shown]
	v_fmac_f32_e32 v36, v12, v2
	v_fma_f32 v2, v12, v3, -v13
	v_fmac_f32_e32 v37, v14, v24
	v_fma_f32 v3, v14, v25, -v15
	v_fmac_f32_e32 v41, v6, v34
	v_fma_f32 v6, v6, v35, -v7
	v_fmac_f32_e32 v40, v4, v32
	v_fma_f32 v4, v4, v33, -v5
	v_fmac_f32_e32 v38, v8, v26
	v_fma_f32 v8, v8, v27, -v9
	v_fmac_f32_e32 v39, v10, v30
	v_fma_f32 v7, v10, v31, -v11
	v_add_f32_e32 v5, v36, v41
	v_add_f32_e32 v9, v2, v6
	v_sub_f32_e32 v2, v2, v6
	v_add_f32_e32 v6, v37, v40
	v_add_f32_e32 v11, v3, v4
	v_sub_f32_e32 v12, v37, v40
	v_sub_f32_e32 v3, v3, v4
	v_add_f32_e32 v4, v38, v39
	v_add_f32_e32 v13, v8, v7
	v_sub_f32_e32 v14, v39, v38
	v_sub_f32_e32 v7, v7, v8
	v_add_f32_e32 v8, v6, v5
	v_add_f32_e32 v15, v11, v9
	v_sub_f32_e32 v10, v36, v41
	v_sub_f32_e32 v24, v6, v5
	v_sub_f32_e32 v25, v11, v9
	v_sub_f32_e32 v26, v5, v4
	v_sub_f32_e32 v9, v9, v13
	v_sub_f32_e32 v6, v4, v6
	v_sub_f32_e32 v11, v13, v11
	v_add_f32_e32 v5, v14, v12
	v_add_f32_e32 v27, v7, v3
	v_sub_f32_e32 v30, v14, v12
	v_sub_f32_e32 v31, v7, v3
	v_add_f32_e32 v8, v4, v8
	v_add_f32_e32 v13, v13, v15
	v_sub_f32_e32 v12, v12, v10
	v_sub_f32_e32 v3, v3, v2
	;; [unrolled: 1-line block ×4, first 2 shown]
	v_add_f32_e32 v10, v5, v10
	v_add_f32_e32 v2, v27, v2
	v_add_f32_e32 v4, v0, v8
	v_add_f32_e32 v5, v1, v13
	v_mul_f32_e32 v0, 0x3f4a47b2, v26
	v_mul_f32_e32 v1, 0x3f4a47b2, v9
	;; [unrolled: 1-line block ×8, first 2 shown]
	v_fmamk_f32 v8, v8, 0xbf955555, v4
	v_fmamk_f32 v13, v13, 0xbf955555, v5
	v_fmamk_f32 v6, v6, 0x3d64c772, v0
	v_fmamk_f32 v11, v11, 0x3d64c772, v1
	v_fma_f32 v9, 0x3f3bfb3b, v24, -v9
	v_fma_f32 v15, 0x3f3bfb3b, v25, -v15
	;; [unrolled: 1-line block ×4, first 2 shown]
	v_fmamk_f32 v24, v14, 0xbeae86e6, v26
	v_fmamk_f32 v25, v7, 0xbeae86e6, v27
	v_fma_f32 v12, 0xbf5ff5aa, v12, -v26
	v_fma_f32 v3, 0xbf5ff5aa, v3, -v27
	;; [unrolled: 1-line block ×4, first 2 shown]
	v_add_f32_e32 v27, v6, v8
	v_add_f32_e32 v30, v11, v13
	v_fmac_f32_e32 v24, 0xbee1c552, v10
	v_fmac_f32_e32 v25, 0xbee1c552, v2
	v_add_f32_e32 v31, v9, v8
	v_add_f32_e32 v15, v15, v13
	;; [unrolled: 1-line block ×4, first 2 shown]
	v_fmac_f32_e32 v12, 0xbee1c552, v10
	v_fmac_f32_e32 v26, 0xbee1c552, v2
	;; [unrolled: 1-line block ×4, first 2 shown]
	v_add_f32_e32 v6, v25, v27
	v_sub_f32_e32 v7, v30, v24
	v_add_f32_e32 v8, v26, v32
	v_sub_f32_e32 v9, v13, v14
	v_sub_f32_e32 v10, v31, v3
	v_add_f32_e32 v11, v12, v15
	v_add_f32_e32 v0, v3, v31
	v_sub_f32_e32 v1, v15, v12
	v_sub_f32_e32 v2, v32, v26
	v_add_f32_e32 v3, v14, v13
	v_sub_f32_e32 v26, v27, v25
	v_add_f32_e32 v27, v24, v30
	ds_write2_b64 v53, v[4:5], v[6:7] offset1:11
	ds_write2_b64 v53, v[8:9], v[10:11] offset0:22 offset1:33
	ds_write2_b64 v53, v[0:1], v[2:3] offset0:44 offset1:55
	ds_write_b64 v53, v[26:27] offset:528
	s_waitcnt lgkmcnt(0)
	s_barrier
	buffer_gl0_inv
	ds_read2_b64 v[4:7], v50 offset1:77
	ds_read2_b64 v[8:11], v50 offset0:154 offset1:231
	s_and_saveexec_b32 s1, s0
	s_cbranch_execz .LBB0_19
; %bb.18:
	v_add_nc_u32_e32 v12, 0x400, v50
	ds_read2_b64 v[0:3], v50 offset0:44 offset1:121
	ds_read2_b64 v[26:29], v12 offset0:70 offset1:147
.LBB0_19:
	s_or_b32 exec_lo, exec_lo, s1
	s_waitcnt lgkmcnt(1)
	v_mul_f32_e32 v12, v21, v7
	v_mul_f32_e32 v13, v21, v6
	s_waitcnt lgkmcnt(0)
	v_mul_f32_e32 v14, v23, v9
	v_mul_f32_e32 v15, v23, v8
	;; [unrolled: 1-line block ×3, first 2 shown]
	v_fmac_f32_e32 v12, v20, v6
	v_mul_f32_e32 v6, v48, v10
	v_fma_f32 v7, v20, v7, -v13
	v_fmac_f32_e32 v14, v22, v8
	v_fmac_f32_e32 v21, v47, v10
	v_fma_f32 v8, v22, v9, -v15
	v_fma_f32 v6, v47, v11, -v6
	v_sub_f32_e32 v9, v4, v14
	v_sub_f32_e32 v10, v12, v21
	;; [unrolled: 1-line block ×4, first 2 shown]
	v_fma_f32 v13, v4, 2.0, -v9
	v_fma_f32 v8, v12, 2.0, -v10
	;; [unrolled: 1-line block ×4, first 2 shown]
	v_add_f32_e32 v4, v9, v6
	v_sub_f32_e32 v5, v11, v10
	v_sub_f32_e32 v6, v13, v8
	;; [unrolled: 1-line block ×3, first 2 shown]
	v_fma_f32 v8, v9, 2.0, -v4
	v_fma_f32 v9, v11, 2.0, -v5
	;; [unrolled: 1-line block ×4, first 2 shown]
	ds_write2_b64 v50, v[10:11], v[8:9] offset1:77
	ds_write2_b64 v50, v[6:7], v[4:5] offset0:154 offset1:231
	s_and_saveexec_b32 s1, s0
	s_cbranch_execz .LBB0_21
; %bb.20:
	v_mul_f32_e32 v4, v19, v26
	v_mul_f32_e32 v5, v17, v3
	;; [unrolled: 1-line block ×6, first 2 shown]
	v_fma_f32 v4, v18, v27, -v4
	v_fmac_f32_e32 v5, v16, v2
	v_fma_f32 v2, v16, v3, -v7
	v_fma_f32 v3, v45, v29, -v8
	v_fmac_f32_e32 v6, v18, v26
	v_fmac_f32_e32 v9, v45, v28
	v_sub_f32_e32 v4, v1, v4
	v_sub_f32_e32 v3, v2, v3
	v_sub_f32_e32 v6, v0, v6
	v_sub_f32_e32 v7, v5, v9
	v_fma_f32 v8, v1, 2.0, -v4
	v_fma_f32 v2, v2, 2.0, -v3
	;; [unrolled: 1-line block ×4, first 2 shown]
	v_sub_f32_e32 v1, v4, v7
	v_add_f32_e32 v0, v6, v3
	v_sub_f32_e32 v3, v8, v2
	v_sub_f32_e32 v2, v9, v5
	v_fma_f32 v5, v4, 2.0, -v1
	v_fma_f32 v4, v6, 2.0, -v0
	;; [unrolled: 1-line block ×3, first 2 shown]
	v_add_nc_u32_e32 v8, 0x400, v50
	v_fma_f32 v6, v9, 2.0, -v2
	ds_write2_b64 v50, v[6:7], v[4:5] offset0:44 offset1:121
	ds_write2_b64 v8, v[2:3], v[0:1] offset0:70 offset1:147
.LBB0_21:
	s_or_b32 exec_lo, exec_lo, s1
	s_waitcnt lgkmcnt(0)
	s_barrier
	buffer_gl0_inv
	s_and_b32 exec_lo, exec_lo, vcc_lo
	s_cbranch_execz .LBB0_23
; %bb.22:
	v_add_co_u32 v0, s0, s14, v50
	v_add_co_ci_u32_e64 v1, null, s15, 0, s0
	s_clause 0x9
	global_load_dwordx2 v[20:21], v50, s[14:15]
	global_load_dwordx2 v[22:23], v50, s[14:15] offset:224
	global_load_dwordx2 v[24:25], v50, s[14:15] offset:448
	;; [unrolled: 1-line block ×9, first 2 shown]
	v_add_co_u32 v0, vcc_lo, 0x800, v0
	v_add_co_ci_u32_e32 v1, vcc_lo, 0, v1, vcc_lo
	v_mad_u64_u32 v[2:3], null, s4, v51, 0
	s_mul_i32 s0, s5, 0xe0
	global_load_dwordx2 v[40:41], v[0:1], off offset:192
	v_mad_u64_u32 v[0:1], null, s6, v42, 0
	s_mul_hi_u32 s1, s4, 0xe0
	s_mul_i32 s2, s4, 0xe0
	s_add_i32 s3, s1, s0
	ds_read_b64 v[53:54], v50
	v_add_nc_u32_e32 v16, 0x400, v50
	ds_read2_b64 v[8:11], v50 offset0:140 offset1:168
	v_mad_u64_u32 v[4:5], null, s7, v42, v[1:2]
	ds_read2_b64 v[12:15], v50 offset0:196 offset1:224
	v_mad_u64_u32 v[61:62], null, s4, v49, 0
	ds_read2_b64 v[16:19], v16 offset0:124 offset1:152
	s_mov_b32 s0, 0x606a63be
	s_mov_b32 s1, 0x3f6a98ef
	v_mad_u64_u32 v[5:6], null, s5, v51, v[3:4]
	v_mov_b32_e32 v1, v4
	v_mov_b32_e32 v48, v62
	v_lshlrev_b64 v[0:1], 3, v[0:1]
	v_mov_b32_e32 v3, v5
	ds_read2_b64 v[4:7], v50 offset0:84 offset1:112
	v_mad_u64_u32 v[48:49], null, s5, v49, v[48:49]
	v_lshlrev_b64 v[2:3], 3, v[2:3]
	v_add_co_u32 v67, vcc_lo, s12, v0
	v_add_co_ci_u32_e32 v68, vcc_lo, s13, v1, vcc_lo
	v_add_co_u32 v42, vcc_lo, v67, v2
	v_add_co_ci_u32_e32 v43, vcc_lo, v68, v3, vcc_lo
	ds_read2_b64 v[0:3], v50 offset0:28 offset1:56
	v_add_co_u32 v44, vcc_lo, v42, s2
	v_add_co_ci_u32_e32 v45, vcc_lo, s3, v43, vcc_lo
	v_add_co_u32 v46, vcc_lo, v44, s2
	v_add_co_ci_u32_e32 v47, vcc_lo, s3, v45, vcc_lo
	;; [unrolled: 2-line block ×7, first 2 shown]
	v_mad_u64_u32 v[65:66], null, 0x1c0, s4, v[63:64]
	v_mov_b32_e32 v49, v66
	s_waitcnt vmcnt(10) lgkmcnt(5)
	v_mul_f32_e32 v50, v54, v21
	v_mul_f32_e32 v21, v53, v21
	s_waitcnt vmcnt(9) lgkmcnt(0)
	v_mul_f32_e32 v62, v1, v23
	v_mul_f32_e32 v23, v0, v23
	s_waitcnt vmcnt(8)
	v_mul_f32_e32 v66, v3, v25
	v_mul_f32_e32 v25, v2, v25
	s_waitcnt vmcnt(7)
	;; [unrolled: 3-line block ×5, first 2 shown]
	v_mul_f32_e32 v74, v15, v37
	v_mul_f32_e32 v37, v14, v37
	v_fmac_f32_e32 v50, v53, v20
	v_fma_f32 v20, v20, v54, -v21
	v_mul_f32_e32 v72, v11, v33
	v_mul_f32_e32 v33, v10, v33
	v_fmac_f32_e32 v62, v0, v22
	v_fma_f32 v21, v22, v1, -v23
	;; [unrolled: 4-line block ×3, first 2 shown]
	v_fmac_f32_e32 v69, v4, v26
	v_fma_f32 v23, v26, v5, -v27
	s_waitcnt vmcnt(1)
	v_mul_f32_e32 v75, v17, v39
	v_mul_f32_e32 v39, v16, v39
	v_fmac_f32_e32 v70, v6, v28
	v_fma_f32 v24, v28, v7, -v29
	v_fmac_f32_e32 v71, v8, v30
	v_fma_f32 v25, v30, v9, -v31
	v_fmac_f32_e32 v74, v14, v36
	v_fma_f32 v36, v36, v15, -v37
	v_cvt_f64_f32_e32 v[0:1], v50
	v_cvt_f64_f32_e32 v[2:3], v20
	s_waitcnt vmcnt(0)
	v_mul_f32_e32 v50, v19, v41
	v_mul_f32_e32 v37, v18, v41
	v_fmac_f32_e32 v72, v10, v32
	v_fma_f32 v28, v32, v11, -v33
	v_cvt_f64_f32_e32 v[4:5], v62
	v_cvt_f64_f32_e32 v[6:7], v21
	v_fmac_f32_e32 v73, v12, v34
	v_fma_f32 v32, v34, v13, -v35
	v_cvt_f64_f32_e32 v[8:9], v66
	v_cvt_f64_f32_e32 v[10:11], v22
	v_cvt_f64_f32_e32 v[12:13], v69
	v_cvt_f64_f32_e32 v[14:15], v23
	v_fmac_f32_e32 v75, v16, v38
	v_fma_f32 v38, v38, v17, -v39
	v_cvt_f64_f32_e32 v[16:17], v70
	v_cvt_f64_f32_e32 v[20:21], v24
	;; [unrolled: 6-line block ×3, first 2 shown]
	v_cvt_f64_f32_e32 v[30:31], v73
	v_cvt_f64_f32_e32 v[32:33], v32
	;; [unrolled: 1-line block ×8, first 2 shown]
	v_mul_f64 v[0:1], v[0:1], s[0:1]
	v_mul_f64 v[2:3], v[2:3], s[0:1]
	;; [unrolled: 1-line block ×22, first 2 shown]
	v_cvt_f32_f64_e32 v0, v[0:1]
	v_cvt_f32_f64_e32 v1, v[2:3]
	;; [unrolled: 1-line block ×12, first 2 shown]
	v_mad_u64_u32 v[12:13], null, 0x1c0, s5, v[49:50]
	v_cvt_f32_f64_e32 v13, v[26:27]
	v_cvt_f32_f64_e32 v14, v[28:29]
	v_cvt_f32_f64_e32 v15, v[30:31]
	v_cvt_f32_f64_e32 v16, v[32:33]
	v_cvt_f32_f64_e32 v17, v[34:35]
	v_cvt_f32_f64_e32 v18, v[18:19]
	v_cvt_f32_f64_e32 v19, v[36:37]
	v_cvt_f32_f64_e32 v20, v[38:39]
	v_cvt_f32_f64_e32 v21, v[40:41]
	v_cvt_f32_f64_e32 v22, v[53:54]
	v_mov_b32_e32 v62, v48
	v_mov_b32_e32 v66, v12
	global_store_dwordx2 v[42:43], v[0:1], off
	global_store_dwordx2 v[44:45], v[2:3], off
	;; [unrolled: 1-line block ×6, first 2 shown]
	v_lshlrev_b64 v[23:24], 3, v[61:62]
	v_add_co_u32 v0, vcc_lo, v67, v23
	v_add_co_ci_u32_e32 v1, vcc_lo, v68, v24, vcc_lo
	v_add_co_u32 v2, vcc_lo, v65, s2
	v_add_co_ci_u32_e32 v3, vcc_lo, s3, v66, vcc_lo
	global_store_dwordx2 v[59:60], v[13:14], off
	global_store_dwordx2 v[63:64], v[15:16], off
	;; [unrolled: 1-line block ×5, first 2 shown]
.LBB0_23:
	s_endpgm
	.section	.rodata,"a",@progbits
	.p2align	6, 0x0
	.amdhsa_kernel bluestein_single_back_len308_dim1_sp_op_CI_CI
		.amdhsa_group_segment_fixed_size 2464
		.amdhsa_private_segment_fixed_size 0
		.amdhsa_kernarg_size 104
		.amdhsa_user_sgpr_count 6
		.amdhsa_user_sgpr_private_segment_buffer 1
		.amdhsa_user_sgpr_dispatch_ptr 0
		.amdhsa_user_sgpr_queue_ptr 0
		.amdhsa_user_sgpr_kernarg_segment_ptr 1
		.amdhsa_user_sgpr_dispatch_id 0
		.amdhsa_user_sgpr_flat_scratch_init 0
		.amdhsa_user_sgpr_private_segment_size 0
		.amdhsa_wavefront_size32 1
		.amdhsa_uses_dynamic_stack 0
		.amdhsa_system_sgpr_private_segment_wavefront_offset 0
		.amdhsa_system_sgpr_workgroup_id_x 1
		.amdhsa_system_sgpr_workgroup_id_y 0
		.amdhsa_system_sgpr_workgroup_id_z 0
		.amdhsa_system_sgpr_workgroup_info 0
		.amdhsa_system_vgpr_workitem_id 0
		.amdhsa_next_free_vgpr 112
		.amdhsa_next_free_sgpr 16
		.amdhsa_reserve_vcc 1
		.amdhsa_reserve_flat_scratch 0
		.amdhsa_float_round_mode_32 0
		.amdhsa_float_round_mode_16_64 0
		.amdhsa_float_denorm_mode_32 3
		.amdhsa_float_denorm_mode_16_64 3
		.amdhsa_dx10_clamp 1
		.amdhsa_ieee_mode 1
		.amdhsa_fp16_overflow 0
		.amdhsa_workgroup_processor_mode 1
		.amdhsa_memory_ordered 1
		.amdhsa_forward_progress 0
		.amdhsa_shared_vgpr_count 0
		.amdhsa_exception_fp_ieee_invalid_op 0
		.amdhsa_exception_fp_denorm_src 0
		.amdhsa_exception_fp_ieee_div_zero 0
		.amdhsa_exception_fp_ieee_overflow 0
		.amdhsa_exception_fp_ieee_underflow 0
		.amdhsa_exception_fp_ieee_inexact 0
		.amdhsa_exception_int_div_zero 0
	.end_amdhsa_kernel
	.text
.Lfunc_end0:
	.size	bluestein_single_back_len308_dim1_sp_op_CI_CI, .Lfunc_end0-bluestein_single_back_len308_dim1_sp_op_CI_CI
                                        ; -- End function
	.section	.AMDGPU.csdata,"",@progbits
; Kernel info:
; codeLenInByte = 9568
; NumSgprs: 18
; NumVgprs: 112
; ScratchSize: 0
; MemoryBound: 0
; FloatMode: 240
; IeeeMode: 1
; LDSByteSize: 2464 bytes/workgroup (compile time only)
; SGPRBlocks: 2
; VGPRBlocks: 13
; NumSGPRsForWavesPerEU: 18
; NumVGPRsForWavesPerEU: 112
; Occupancy: 9
; WaveLimiterHint : 1
; COMPUTE_PGM_RSRC2:SCRATCH_EN: 0
; COMPUTE_PGM_RSRC2:USER_SGPR: 6
; COMPUTE_PGM_RSRC2:TRAP_HANDLER: 0
; COMPUTE_PGM_RSRC2:TGID_X_EN: 1
; COMPUTE_PGM_RSRC2:TGID_Y_EN: 0
; COMPUTE_PGM_RSRC2:TGID_Z_EN: 0
; COMPUTE_PGM_RSRC2:TIDIG_COMP_CNT: 0
	.text
	.p2alignl 6, 3214868480
	.fill 48, 4, 3214868480
	.type	__hip_cuid_ae033027b16d4d17,@object ; @__hip_cuid_ae033027b16d4d17
	.section	.bss,"aw",@nobits
	.globl	__hip_cuid_ae033027b16d4d17
__hip_cuid_ae033027b16d4d17:
	.byte	0                               ; 0x0
	.size	__hip_cuid_ae033027b16d4d17, 1

	.ident	"AMD clang version 19.0.0git (https://github.com/RadeonOpenCompute/llvm-project roc-6.4.0 25133 c7fe45cf4b819c5991fe208aaa96edf142730f1d)"
	.section	".note.GNU-stack","",@progbits
	.addrsig
	.addrsig_sym __hip_cuid_ae033027b16d4d17
	.amdgpu_metadata
---
amdhsa.kernels:
  - .args:
      - .actual_access:  read_only
        .address_space:  global
        .offset:         0
        .size:           8
        .value_kind:     global_buffer
      - .actual_access:  read_only
        .address_space:  global
        .offset:         8
        .size:           8
        .value_kind:     global_buffer
      - .actual_access:  read_only
        .address_space:  global
        .offset:         16
        .size:           8
        .value_kind:     global_buffer
      - .actual_access:  read_only
        .address_space:  global
        .offset:         24
        .size:           8
        .value_kind:     global_buffer
      - .actual_access:  read_only
        .address_space:  global
        .offset:         32
        .size:           8
        .value_kind:     global_buffer
      - .offset:         40
        .size:           8
        .value_kind:     by_value
      - .address_space:  global
        .offset:         48
        .size:           8
        .value_kind:     global_buffer
      - .address_space:  global
        .offset:         56
        .size:           8
        .value_kind:     global_buffer
      - .address_space:  global
        .offset:         64
        .size:           8
        .value_kind:     global_buffer
      - .address_space:  global
        .offset:         72
        .size:           8
        .value_kind:     global_buffer
      - .offset:         80
        .size:           4
        .value_kind:     by_value
      - .address_space:  global
        .offset:         88
        .size:           8
        .value_kind:     global_buffer
      - .address_space:  global
        .offset:         96
        .size:           8
        .value_kind:     global_buffer
    .group_segment_fixed_size: 2464
    .kernarg_segment_align: 8
    .kernarg_segment_size: 104
    .language:       OpenCL C
    .language_version:
      - 2
      - 0
    .max_flat_workgroup_size: 44
    .name:           bluestein_single_back_len308_dim1_sp_op_CI_CI
    .private_segment_fixed_size: 0
    .sgpr_count:     18
    .sgpr_spill_count: 0
    .symbol:         bluestein_single_back_len308_dim1_sp_op_CI_CI.kd
    .uniform_work_group_size: 1
    .uses_dynamic_stack: false
    .vgpr_count:     112
    .vgpr_spill_count: 0
    .wavefront_size: 32
    .workgroup_processor_mode: 1
amdhsa.target:   amdgcn-amd-amdhsa--gfx1030
amdhsa.version:
  - 1
  - 2
...

	.end_amdgpu_metadata
